;; amdgpu-corpus repo=ROCm/rocFFT kind=compiled arch=gfx1201 opt=O3
	.text
	.amdgcn_target "amdgcn-amd-amdhsa--gfx1201"
	.amdhsa_code_object_version 6
	.protected	fft_rtc_back_len4096_factors_16_16_16_wgs_256_tpt_256_halfLds_dp_ip_CI_unitstride_sbrr_dirReg ; -- Begin function fft_rtc_back_len4096_factors_16_16_16_wgs_256_tpt_256_halfLds_dp_ip_CI_unitstride_sbrr_dirReg
	.globl	fft_rtc_back_len4096_factors_16_16_16_wgs_256_tpt_256_halfLds_dp_ip_CI_unitstride_sbrr_dirReg
	.p2align	8
	.type	fft_rtc_back_len4096_factors_16_16_16_wgs_256_tpt_256_halfLds_dp_ip_CI_unitstride_sbrr_dirReg,@function
fft_rtc_back_len4096_factors_16_16_16_wgs_256_tpt_256_halfLds_dp_ip_CI_unitstride_sbrr_dirReg: ; @fft_rtc_back_len4096_factors_16_16_16_wgs_256_tpt_256_halfLds_dp_ip_CI_unitstride_sbrr_dirReg
; %bb.0:
	s_clause 0x2
	s_load_b128 s[4:7], s[0:1], 0x0
	s_load_b64 s[8:9], s[0:1], 0x50
	s_load_b64 s[10:11], s[0:1], 0x18
	v_mov_b32_e32 v3, 0
	v_mov_b32_e32 v1, 0
	v_dual_mov_b32 v2, 0 :: v_dual_mov_b32 v5, ttmp9
	s_mov_b32 s3, 0
	s_delay_alu instid0(VALU_DEP_3) | instskip(SKIP_2) | instid1(VALU_DEP_1)
	v_mov_b32_e32 v6, v3
	s_wait_kmcnt 0x0
	v_cmp_lt_u64_e64 s2, s[6:7], 2
	s_and_b32 vcc_lo, exec_lo, s2
	s_cbranch_vccnz .LBB0_8
; %bb.1:
	s_load_b64 s[14:15], s[0:1], 0x10
	v_mov_b32_e32 v1, 0
	v_mov_b32_e32 v2, 0
	s_add_nc_u64 s[12:13], s[10:11], 8
	s_mov_b64 s[16:17], 1
	s_wait_kmcnt 0x0
	s_add_nc_u64 s[14:15], s[14:15], 8
.LBB0_2:                                ; =>This Inner Loop Header: Depth=1
	s_load_b64 s[18:19], s[14:15], 0x0
                                        ; implicit-def: $vgpr7_vgpr8
	s_mov_b32 s2, exec_lo
	s_wait_kmcnt 0x0
	v_or_b32_e32 v4, s19, v6
	s_delay_alu instid0(VALU_DEP_1)
	v_cmpx_ne_u64_e32 0, v[3:4]
	s_wait_alu 0xfffe
	s_xor_b32 s20, exec_lo, s2
	s_cbranch_execz .LBB0_4
; %bb.3:                                ;   in Loop: Header=BB0_2 Depth=1
	s_cvt_f32_u32 s2, s18
	s_cvt_f32_u32 s21, s19
	s_sub_nc_u64 s[24:25], 0, s[18:19]
	s_wait_alu 0xfffe
	s_delay_alu instid0(SALU_CYCLE_1) | instskip(SKIP_1) | instid1(SALU_CYCLE_2)
	s_fmamk_f32 s2, s21, 0x4f800000, s2
	s_wait_alu 0xfffe
	v_s_rcp_f32 s2, s2
	s_delay_alu instid0(TRANS32_DEP_1) | instskip(SKIP_1) | instid1(SALU_CYCLE_2)
	s_mul_f32 s2, s2, 0x5f7ffffc
	s_wait_alu 0xfffe
	s_mul_f32 s21, s2, 0x2f800000
	s_wait_alu 0xfffe
	s_delay_alu instid0(SALU_CYCLE_2) | instskip(SKIP_1) | instid1(SALU_CYCLE_2)
	s_trunc_f32 s21, s21
	s_wait_alu 0xfffe
	s_fmamk_f32 s2, s21, 0xcf800000, s2
	s_cvt_u32_f32 s23, s21
	s_wait_alu 0xfffe
	s_delay_alu instid0(SALU_CYCLE_1) | instskip(SKIP_1) | instid1(SALU_CYCLE_2)
	s_cvt_u32_f32 s22, s2
	s_wait_alu 0xfffe
	s_mul_u64 s[26:27], s[24:25], s[22:23]
	s_wait_alu 0xfffe
	s_mul_hi_u32 s29, s22, s27
	s_mul_i32 s28, s22, s27
	s_mul_hi_u32 s2, s22, s26
	s_mul_i32 s30, s23, s26
	s_wait_alu 0xfffe
	s_add_nc_u64 s[28:29], s[2:3], s[28:29]
	s_mul_hi_u32 s21, s23, s26
	s_mul_hi_u32 s31, s23, s27
	s_add_co_u32 s2, s28, s30
	s_wait_alu 0xfffe
	s_add_co_ci_u32 s2, s29, s21
	s_mul_i32 s26, s23, s27
	s_add_co_ci_u32 s27, s31, 0
	s_wait_alu 0xfffe
	s_add_nc_u64 s[26:27], s[2:3], s[26:27]
	s_wait_alu 0xfffe
	v_add_co_u32 v4, s2, s22, s26
	s_delay_alu instid0(VALU_DEP_1) | instskip(SKIP_1) | instid1(VALU_DEP_1)
	s_cmp_lg_u32 s2, 0
	s_add_co_ci_u32 s23, s23, s27
	v_readfirstlane_b32 s22, v4
	s_wait_alu 0xfffe
	s_delay_alu instid0(VALU_DEP_1)
	s_mul_u64 s[24:25], s[24:25], s[22:23]
	s_wait_alu 0xfffe
	s_mul_hi_u32 s27, s22, s25
	s_mul_i32 s26, s22, s25
	s_mul_hi_u32 s2, s22, s24
	s_mul_i32 s28, s23, s24
	s_wait_alu 0xfffe
	s_add_nc_u64 s[26:27], s[2:3], s[26:27]
	s_mul_hi_u32 s21, s23, s24
	s_mul_hi_u32 s22, s23, s25
	s_wait_alu 0xfffe
	s_add_co_u32 s2, s26, s28
	s_add_co_ci_u32 s2, s27, s21
	s_mul_i32 s24, s23, s25
	s_add_co_ci_u32 s25, s22, 0
	s_wait_alu 0xfffe
	s_add_nc_u64 s[24:25], s[2:3], s[24:25]
	s_wait_alu 0xfffe
	v_add_co_u32 v4, s2, v4, s24
	s_delay_alu instid0(VALU_DEP_1) | instskip(SKIP_1) | instid1(VALU_DEP_1)
	s_cmp_lg_u32 s2, 0
	s_add_co_ci_u32 s2, s23, s25
	v_mul_hi_u32 v13, v5, v4
	s_wait_alu 0xfffe
	v_mad_co_u64_u32 v[7:8], null, v5, s2, 0
	v_mad_co_u64_u32 v[9:10], null, v6, v4, 0
	;; [unrolled: 1-line block ×3, first 2 shown]
	s_delay_alu instid0(VALU_DEP_3) | instskip(SKIP_1) | instid1(VALU_DEP_4)
	v_add_co_u32 v4, vcc_lo, v13, v7
	s_wait_alu 0xfffd
	v_add_co_ci_u32_e32 v7, vcc_lo, 0, v8, vcc_lo
	s_delay_alu instid0(VALU_DEP_2) | instskip(SKIP_1) | instid1(VALU_DEP_2)
	v_add_co_u32 v4, vcc_lo, v4, v9
	s_wait_alu 0xfffd
	v_add_co_ci_u32_e32 v4, vcc_lo, v7, v10, vcc_lo
	s_wait_alu 0xfffd
	v_add_co_ci_u32_e32 v7, vcc_lo, 0, v12, vcc_lo
	s_delay_alu instid0(VALU_DEP_2) | instskip(SKIP_1) | instid1(VALU_DEP_2)
	v_add_co_u32 v4, vcc_lo, v4, v11
	s_wait_alu 0xfffd
	v_add_co_ci_u32_e32 v9, vcc_lo, 0, v7, vcc_lo
	s_delay_alu instid0(VALU_DEP_2) | instskip(SKIP_1) | instid1(VALU_DEP_3)
	v_mul_lo_u32 v10, s19, v4
	v_mad_co_u64_u32 v[7:8], null, s18, v4, 0
	v_mul_lo_u32 v11, s18, v9
	s_delay_alu instid0(VALU_DEP_2) | instskip(NEXT) | instid1(VALU_DEP_2)
	v_sub_co_u32 v7, vcc_lo, v5, v7
	v_add3_u32 v8, v8, v11, v10
	s_delay_alu instid0(VALU_DEP_1) | instskip(SKIP_1) | instid1(VALU_DEP_1)
	v_sub_nc_u32_e32 v10, v6, v8
	s_wait_alu 0xfffd
	v_subrev_co_ci_u32_e64 v10, s2, s19, v10, vcc_lo
	v_add_co_u32 v11, s2, v4, 2
	s_wait_alu 0xf1ff
	v_add_co_ci_u32_e64 v12, s2, 0, v9, s2
	v_sub_co_u32 v13, s2, v7, s18
	v_sub_co_ci_u32_e32 v8, vcc_lo, v6, v8, vcc_lo
	s_wait_alu 0xf1ff
	v_subrev_co_ci_u32_e64 v10, s2, 0, v10, s2
	s_delay_alu instid0(VALU_DEP_3) | instskip(NEXT) | instid1(VALU_DEP_3)
	v_cmp_le_u32_e32 vcc_lo, s18, v13
	v_cmp_eq_u32_e64 s2, s19, v8
	s_wait_alu 0xfffd
	v_cndmask_b32_e64 v13, 0, -1, vcc_lo
	v_cmp_le_u32_e32 vcc_lo, s19, v10
	s_wait_alu 0xfffd
	v_cndmask_b32_e64 v14, 0, -1, vcc_lo
	v_cmp_le_u32_e32 vcc_lo, s18, v7
	;; [unrolled: 3-line block ×3, first 2 shown]
	s_wait_alu 0xfffd
	v_cndmask_b32_e64 v15, 0, -1, vcc_lo
	v_cmp_eq_u32_e32 vcc_lo, s19, v10
	s_wait_alu 0xf1ff
	s_delay_alu instid0(VALU_DEP_2)
	v_cndmask_b32_e64 v7, v15, v7, s2
	s_wait_alu 0xfffd
	v_cndmask_b32_e32 v10, v14, v13, vcc_lo
	v_add_co_u32 v13, vcc_lo, v4, 1
	s_wait_alu 0xfffd
	v_add_co_ci_u32_e32 v14, vcc_lo, 0, v9, vcc_lo
	s_delay_alu instid0(VALU_DEP_3) | instskip(SKIP_2) | instid1(VALU_DEP_3)
	v_cmp_ne_u32_e32 vcc_lo, 0, v10
	s_wait_alu 0xfffd
	v_cndmask_b32_e32 v10, v13, v11, vcc_lo
	v_cndmask_b32_e32 v8, v14, v12, vcc_lo
	v_cmp_ne_u32_e32 vcc_lo, 0, v7
	s_wait_alu 0xfffd
	s_delay_alu instid0(VALU_DEP_2)
	v_dual_cndmask_b32 v7, v4, v10 :: v_dual_cndmask_b32 v8, v9, v8
.LBB0_4:                                ;   in Loop: Header=BB0_2 Depth=1
	s_wait_alu 0xfffe
	s_and_not1_saveexec_b32 s2, s20
	s_cbranch_execz .LBB0_6
; %bb.5:                                ;   in Loop: Header=BB0_2 Depth=1
	v_cvt_f32_u32_e32 v4, s18
	s_sub_co_i32 s20, 0, s18
	s_delay_alu instid0(VALU_DEP_1) | instskip(NEXT) | instid1(TRANS32_DEP_1)
	v_rcp_iflag_f32_e32 v4, v4
	v_mul_f32_e32 v4, 0x4f7ffffe, v4
	s_delay_alu instid0(VALU_DEP_1) | instskip(SKIP_1) | instid1(VALU_DEP_1)
	v_cvt_u32_f32_e32 v4, v4
	s_wait_alu 0xfffe
	v_mul_lo_u32 v7, s20, v4
	s_delay_alu instid0(VALU_DEP_1) | instskip(NEXT) | instid1(VALU_DEP_1)
	v_mul_hi_u32 v7, v4, v7
	v_add_nc_u32_e32 v4, v4, v7
	s_delay_alu instid0(VALU_DEP_1) | instskip(NEXT) | instid1(VALU_DEP_1)
	v_mul_hi_u32 v4, v5, v4
	v_mul_lo_u32 v7, v4, s18
	v_add_nc_u32_e32 v8, 1, v4
	s_delay_alu instid0(VALU_DEP_2) | instskip(NEXT) | instid1(VALU_DEP_1)
	v_sub_nc_u32_e32 v7, v5, v7
	v_subrev_nc_u32_e32 v9, s18, v7
	v_cmp_le_u32_e32 vcc_lo, s18, v7
	s_wait_alu 0xfffd
	s_delay_alu instid0(VALU_DEP_2) | instskip(NEXT) | instid1(VALU_DEP_1)
	v_dual_cndmask_b32 v7, v7, v9 :: v_dual_cndmask_b32 v4, v4, v8
	v_cmp_le_u32_e32 vcc_lo, s18, v7
	s_delay_alu instid0(VALU_DEP_2) | instskip(SKIP_1) | instid1(VALU_DEP_1)
	v_add_nc_u32_e32 v8, 1, v4
	s_wait_alu 0xfffd
	v_dual_cndmask_b32 v7, v4, v8 :: v_dual_mov_b32 v8, v3
.LBB0_6:                                ;   in Loop: Header=BB0_2 Depth=1
	s_wait_alu 0xfffe
	s_or_b32 exec_lo, exec_lo, s2
	s_load_b64 s[20:21], s[12:13], 0x0
	s_delay_alu instid0(VALU_DEP_1)
	v_mul_lo_u32 v4, v8, s18
	v_mul_lo_u32 v11, v7, s19
	v_mad_co_u64_u32 v[9:10], null, v7, s18, 0
	s_add_nc_u64 s[16:17], s[16:17], 1
	s_add_nc_u64 s[12:13], s[12:13], 8
	s_wait_alu 0xfffe
	v_cmp_ge_u64_e64 s2, s[16:17], s[6:7]
	s_add_nc_u64 s[14:15], s[14:15], 8
	s_delay_alu instid0(VALU_DEP_2) | instskip(NEXT) | instid1(VALU_DEP_3)
	v_add3_u32 v4, v10, v11, v4
	v_sub_co_u32 v5, vcc_lo, v5, v9
	s_wait_alu 0xfffd
	s_delay_alu instid0(VALU_DEP_2) | instskip(SKIP_3) | instid1(VALU_DEP_2)
	v_sub_co_ci_u32_e32 v4, vcc_lo, v6, v4, vcc_lo
	s_and_b32 vcc_lo, exec_lo, s2
	s_wait_kmcnt 0x0
	v_mul_lo_u32 v6, s21, v5
	v_mul_lo_u32 v4, s20, v4
	v_mad_co_u64_u32 v[1:2], null, s20, v5, v[1:2]
	s_delay_alu instid0(VALU_DEP_1)
	v_add3_u32 v2, v6, v2, v4
	s_wait_alu 0xfffe
	s_cbranch_vccnz .LBB0_9
; %bb.7:                                ;   in Loop: Header=BB0_2 Depth=1
	v_dual_mov_b32 v5, v7 :: v_dual_mov_b32 v6, v8
	s_branch .LBB0_2
.LBB0_8:
	v_dual_mov_b32 v8, v6 :: v_dual_mov_b32 v7, v5
.LBB0_9:
	s_lshl_b64 s[2:3], s[6:7], 3
	v_mov_b32_e32 v67, 0
	s_wait_alu 0xfffe
	s_add_nc_u64 s[2:3], s[10:11], s[2:3]
                                        ; implicit-def: $vgpr19_vgpr20
                                        ; implicit-def: $vgpr23_vgpr24
                                        ; implicit-def: $vgpr11_vgpr12
                                        ; implicit-def: $vgpr15_vgpr16
                                        ; implicit-def: $vgpr27_vgpr28
                                        ; implicit-def: $vgpr35_vgpr36
                                        ; implicit-def: $vgpr43_vgpr44
                                        ; implicit-def: $vgpr47_vgpr48
                                        ; implicit-def: $vgpr55_vgpr56
                                        ; implicit-def: $vgpr51_vgpr52
                                        ; implicit-def: $vgpr59_vgpr60
                                        ; implicit-def: $vgpr63_vgpr64
                                        ; implicit-def: $vgpr39_vgpr40
                                        ; implicit-def: $vgpr31_vgpr32
	s_load_b64 s[2:3], s[2:3], 0x0
	s_load_b64 s[0:1], s[0:1], 0x20
	s_wait_kmcnt 0x0
	v_mul_lo_u32 v3, s2, v8
	v_mul_lo_u32 v4, s3, v7
	v_mad_co_u64_u32 v[1:2], null, s2, v7, v[1:2]
	v_cmp_gt_u64_e32 vcc_lo, s[0:1], v[7:8]
                                        ; implicit-def: $vgpr7_vgpr8
	s_delay_alu instid0(VALU_DEP_2) | instskip(NEXT) | instid1(VALU_DEP_1)
	v_add3_u32 v2, v4, v2, v3
                                        ; implicit-def: $vgpr3_vgpr4
	v_lshlrev_b64_e32 v[65:66], 4, v[1:2]
	s_and_saveexec_b32 s1, vcc_lo
	s_cbranch_execz .LBB0_11
; %bb.10:
	v_lshlrev_b32_e32 v41, 4, v0
	s_delay_alu instid0(VALU_DEP_2) | instskip(SKIP_2) | instid1(VALU_DEP_3)
	v_add_co_u32 v42, s0, s8, v65
	s_wait_alu 0xf1ff
	v_add_co_ci_u32_e64 v43, s0, s9, v66, s0
	v_or_b32_e32 v9, 0x3000, v41
	s_delay_alu instid0(VALU_DEP_3)
	v_add_co_u32 v45, s0, v42, v41
	v_or_b32_e32 v10, 0x7000, v41
	s_wait_alu 0xf1ff
	v_add_co_ci_u32_e64 v46, s0, 0, v43, s0
	v_add_co_u32 v21, s0, v42, v9
	v_or_b32_e32 v44, 0xb000, v41
	s_wait_alu 0xf1ff
	v_add_co_ci_u32_e64 v22, s0, 0, v43, s0
	;; [unrolled: 4-line block ×3, first 2 shown]
	v_add_co_u32 v47, s0, v42, v44
	s_wait_alu 0xf1ff
	v_add_co_ci_u32_e64 v48, s0, 0, v43, s0
	v_add_co_u32 v61, s0, v42, v41
	s_wait_alu 0xf1ff
	v_add_co_ci_u32_e64 v62, s0, 0, v43, s0
	s_clause 0xf
	global_load_b128 v[5:8], v[45:46], off
	global_load_b128 v[1:4], v[45:46], off offset:4096
	global_load_b128 v[17:20], v[45:46], off offset:8192
	;; [unrolled: 1-line block ×5, first 2 shown]
	global_load_b128 v[21:24], v[21:22], off
	global_load_b128 v[25:28], v[25:26], off
	global_load_b128 v[33:36], v[45:46], off offset:32768
	global_load_b128 v[37:40], v[45:46], off offset:36864
	;; [unrolled: 1-line block ×6, first 2 shown]
	global_load_b128 v[45:48], v[47:48], off
	global_load_b128 v[61:64], v[61:62], off
	v_mov_b32_e32 v67, v0
.LBB0_11:
	s_wait_alu 0xfffe
	s_or_b32 exec_lo, exec_lo, s1
	s_wait_loadcnt 0x7
	v_add_f64_e64 v[33:34], v[5:6], -v[33:34]
	s_wait_loadcnt 0x4
	v_add_f64_e64 v[55:56], v[11:12], -v[55:56]
	v_add_f64_e64 v[41:42], v[17:18], -v[41:42]
	s_wait_loadcnt 0x2
	v_add_f64_e64 v[59:60], v[31:32], -v[59:60]
	v_add_f64_e64 v[37:38], v[1:2], -v[37:38]
	;; [unrolled: 1-line block ×3, first 2 shown]
	s_wait_loadcnt 0x1
	v_add_f64_e64 v[45:46], v[21:22], -v[45:46]
	s_wait_loadcnt 0x0
	v_add_f64_e64 v[63:64], v[27:28], -v[63:64]
	v_add_f64_e64 v[35:36], v[7:8], -v[35:36]
	;; [unrolled: 1-line block ×9, first 2 shown]
	s_mov_b32 s0, 0x667f3bcd
	s_mov_b32 s1, 0xbfe6a09e
	;; [unrolled: 1-line block ×3, first 2 shown]
	s_wait_alu 0xfffe
	s_mov_b32 s2, s0
	s_mov_b32 s6, 0xcf328d46
	;; [unrolled: 1-line block ×6, first 2 shown]
	s_wait_alu 0xfffe
	s_mov_b32 s14, s6
	s_mov_b32 s13, 0xbfd87de2
	;; [unrolled: 1-line block ×3, first 2 shown]
	v_fma_f64 v[5:6], v[5:6], 2.0, -v[33:34]
	v_add_f64_e32 v[68:69], v[55:56], v[33:34]
	v_fma_f64 v[17:18], v[17:18], 2.0, -v[41:42]
	v_add_f64_e32 v[70:71], v[41:42], v[59:60]
	;; [unrolled: 2-line block ×4, first 2 shown]
	v_fma_f64 v[21:22], v[21:22], 2.0, -v[45:46]
	v_add_f64_e64 v[76:77], v[35:36], -v[53:54]
	v_fma_f64 v[9:10], v[9:10], 2.0, -v[53:54]
	v_add_f64_e64 v[78:79], v[43:44], -v[57:58]
	;; [unrolled: 2-line block ×4, first 2 shown]
	v_fma_f64 v[13:14], v[13:14], 2.0, -v[49:50]
	v_fma_f64 v[23:24], v[23:24], 2.0, -v[47:48]
	;; [unrolled: 1-line block ×10, first 2 shown]
	v_fma_f64 v[49:50], v[70:71], s[2:3], v[68:69]
	v_fma_f64 v[37:38], v[37:38], 2.0, -v[72:73]
	v_fma_f64 v[45:46], v[45:46], 2.0, -v[74:75]
	v_fma_f64 v[55:56], v[74:75], s[2:3], v[72:73]
	v_fma_f64 v[35:36], v[35:36], 2.0, -v[76:77]
	v_add_f64_e64 v[9:10], v[5:6], -v[9:10]
	v_fma_f64 v[43:44], v[43:44], 2.0, -v[78:79]
	v_add_f64_e64 v[31:32], v[19:20], -v[31:32]
	;; [unrolled: 2-line block ×4, first 2 shown]
	v_fma_f64 v[57:58], v[78:79], s[2:3], v[76:77]
	v_add_f64_e64 v[25:26], v[21:22], -v[25:26]
	v_add_f64_e64 v[27:28], v[23:24], -v[27:28]
	v_fma_f64 v[63:64], v[82:83], s[2:3], v[80:81]
	v_add_f64_e64 v[11:12], v[7:8], -v[11:12]
	v_add_f64_e64 v[15:16], v[3:4], -v[15:16]
	v_fma_f64 v[51:52], v[41:42], s[0:1], v[33:34]
	v_fma_f64 v[49:50], v[78:79], s[2:3], v[49:50]
	;; [unrolled: 1-line block ×3, first 2 shown]
	v_fma_f64 v[5:6], v[5:6], 2.0, -v[9:10]
	v_fma_f64 v[59:60], v[43:44], s[0:1], v[35:36]
	v_add_f64_e32 v[84:85], v[31:32], v[9:10]
	v_fma_f64 v[19:20], v[19:20], 2.0, -v[31:32]
	v_fma_f64 v[17:18], v[17:18], 2.0, -v[29:30]
	v_fma_f64 v[61:62], v[47:48], s[0:1], v[39:40]
	v_fma_f64 v[1:2], v[1:2], 2.0, -v[13:14]
	v_fma_f64 v[21:22], v[21:22], 2.0, -v[25:26]
	v_add_f64_e32 v[78:79], v[27:28], v[13:14]
	v_fma_f64 v[23:24], v[23:24], 2.0, -v[27:28]
	v_fma_f64 v[7:8], v[7:8], 2.0, -v[11:12]
	v_add_f64_e64 v[30:31], v[11:12], -v[29:30]
	v_fma_f64 v[3:4], v[3:4], 2.0, -v[15:16]
	v_add_f64_e64 v[25:26], v[15:16], -v[25:26]
	v_fma_f64 v[51:52], v[43:44], s[2:3], v[51:52]
	v_fma_f64 v[43:44], v[47:48], s[2:3], v[53:54]
	;; [unrolled: 1-line block ×6, first 2 shown]
	v_fma_f64 v[53:54], v[9:10], 2.0, -v[84:85]
	v_fma_f64 v[58:59], v[68:69], 2.0, -v[49:50]
	v_fma_f64 v[27:28], v[45:46], s[0:1], v[61:62]
	v_add_f64_e64 v[45:46], v[5:6], -v[17:18]
	v_add_f64_e64 v[17:18], v[1:2], -v[21:22]
	v_fma_f64 v[60:61], v[13:14], 2.0, -v[78:79]
	v_fma_f64 v[13:14], v[78:79], s[2:3], v[84:85]
	v_add_f64_e64 v[68:69], v[7:8], -v[19:20]
	v_fma_f64 v[70:71], v[11:12], 2.0, -v[30:31]
	v_add_f64_e64 v[9:10], v[3:4], -v[23:24]
	v_fma_f64 v[11:12], v[15:16], 2.0, -v[25:26]
	v_fma_f64 v[88:89], v[25:26], s[2:3], v[30:31]
	v_fma_f64 v[32:33], v[33:34], 2.0, -v[51:52]
	v_fma_f64 v[37:38], v[37:38], 2.0, -v[43:44]
	v_fma_f64 v[62:63], v[72:73], 2.0, -v[47:48]
	v_fma_f64 v[74:75], v[76:77], 2.0, -v[82:83]
	v_fma_f64 v[21:22], v[47:48], s[14:15], v[49:50]
	v_fma_f64 v[76:77], v[35:36], 2.0, -v[56:57]
	v_fma_f64 v[19:20], v[80:81], 2.0, -v[41:42]
	v_fma_f64 v[23:24], v[43:44], s[10:11], v[51:52]
	v_fma_f64 v[102:103], v[41:42], s[14:15], v[82:83]
	v_fma_f64 v[15:16], v[39:40], 2.0, -v[27:28]
	v_fma_f64 v[72:73], v[5:6], 2.0, -v[45:46]
	v_fma_f64 v[100:101], v[27:28], s[10:11], v[56:57]
	v_fma_f64 v[34:35], v[1:2], 2.0, -v[17:18]
	v_fma_f64 v[39:40], v[60:61], s[0:1], v[53:54]
	v_fma_f64 v[5:6], v[25:26], s[2:3], v[13:14]
	v_fma_f64 v[90:91], v[7:8], 2.0, -v[68:69]
	v_add_f64_e64 v[17:18], v[68:69], -v[17:18]
	v_fma_f64 v[92:93], v[3:4], 2.0, -v[9:10]
	v_fma_f64 v[94:95], v[11:12], s[0:1], v[70:71]
	v_add_f64_e32 v[1:2], v[9:10], v[45:46]
	v_and_b32_e32 v25, 15, v0
	v_fma_f64 v[80:81], v[37:38], s[6:7], v[32:33]
	v_fma_f64 v[86:87], v[62:63], s[12:13], v[58:59]
	;; [unrolled: 1-line block ×8, first 2 shown]
	v_add_f64_e64 v[9:10], v[72:73], -v[34:35]
	v_fma_f64 v[13:14], v[11:12], s[2:3], v[39:40]
	v_add_f64_e64 v[26:27], v[90:91], -v[92:93]
	v_fma_f64 v[34:35], v[60:61], s[0:1], v[94:95]
	v_fma_f64 v[11:12], v[15:16], s[10:11], v[80:81]
	;; [unrolled: 1-line block ×4, first 2 shown]
	v_fma_f64 v[42:43], v[84:85], 2.0, -v[5:6]
	v_fma_f64 v[40:41], v[51:52], 2.0, -v[3:4]
	;; [unrolled: 1-line block ×3, first 2 shown]
	v_fma_f64 v[28:29], v[37:38], s[12:13], v[96:97]
	v_fma_f64 v[36:37], v[62:63], s[6:7], v[98:99]
	v_fma_f64 v[38:39], v[45:46], 2.0, -v[1:2]
	v_fma_f64 v[44:45], v[49:50], 2.0, -v[7:8]
	;; [unrolled: 1-line block ×11, first 2 shown]
	v_lshl_add_u32 v33, v0, 7, 0
	v_mul_u32_u24_e32 v30, 15, v25
	ds_store_b128 v33, v[1:4] offset:96
	ds_store_b128 v33, v[5:8] offset:112
	;; [unrolled: 1-line block ×6, first 2 shown]
	ds_store_b128 v33, v[46:49]
	ds_store_b128 v33, v[50:53] offset:16
	v_fma_f64 v[70:71], v[76:77], 2.0, -v[28:29]
	v_fma_f64 v[74:75], v[74:75], 2.0, -v[36:37]
	v_mad_i32_i24 v25, 0xffffff88, v0, v33
	v_lshlrev_b32_e32 v32, 4, v30
	global_wb scope:SCOPE_SE
	s_wait_dscnt 0x0
	s_barrier_signal -1
	s_barrier_wait -1
	global_inv scope:SCOPE_SE
	ds_load_2addr_stride64_b64 v[1:4], v25 offset1:4
	ds_load_2addr_stride64_b64 v[5:8], v25 offset0:8 offset1:12
	ds_load_2addr_stride64_b64 v[9:12], v25 offset0:16 offset1:20
	;; [unrolled: 1-line block ×7, first 2 shown]
	global_wb scope:SCOPE_SE
	s_wait_dscnt 0x0
	s_barrier_signal -1
	s_barrier_wait -1
	global_inv scope:SCOPE_SE
	ds_store_b128 v33, v[68:71]
	ds_store_b128 v33, v[72:75] offset:16
	ds_store_b128 v33, v[54:57] offset:32
	;; [unrolled: 1-line block ×7, first 2 shown]
	global_wb scope:SCOPE_SE
	s_wait_dscnt 0x0
	s_barrier_signal -1
	s_barrier_wait -1
	global_inv scope:SCOPE_SE
	s_clause 0x7
	global_load_b128 v[17:20], v32, s[4:5] offset:16
	global_load_b128 v[21:24], v32, s[4:5] offset:32
	global_load_b128 v[26:29], v32, s[4:5] offset:48
	global_load_b128 v[34:37], v32, s[4:5] offset:64
	global_load_b128 v[54:57], v32, s[4:5] offset:80
	global_load_b128 v[58:61], v32, s[4:5] offset:96
	global_load_b128 v[68:71], v32, s[4:5] offset:112
	global_load_b128 v[72:75], v32, s[4:5] offset:128
	ds_load_2addr_stride64_b64 v[76:79], v25 offset0:8 offset1:12
	ds_load_2addr_stride64_b64 v[84:87], v25 offset0:16 offset1:20
	s_clause 0x1
	global_load_b128 v[88:91], v32, s[4:5] offset:176
	global_load_b128 v[80:83], v32, s[4:5]
	s_wait_loadcnt_dscnt 0x901
	v_mul_f64_e32 v[30:31], v[76:77], v[19:20]
	v_mul_f64_e32 v[19:20], v[5:6], v[19:20]
	s_wait_loadcnt 0x8
	v_mul_f64_e32 v[62:63], v[78:79], v[23:24]
	v_mul_f64_e32 v[23:24], v[7:8], v[23:24]
	s_wait_loadcnt_dscnt 0x700
	v_mul_f64_e32 v[92:93], v[84:85], v[28:29]
	s_wait_loadcnt 0x6
	v_mul_f64_e32 v[94:95], v[86:87], v[36:37]
	v_mul_f64_e32 v[28:29], v[9:10], v[28:29]
	v_mul_f64_e32 v[36:37], v[11:12], v[36:37]
	v_fma_f64 v[30:31], v[5:6], v[17:18], v[30:31]
	v_fma_f64 v[76:77], v[76:77], v[17:18], -v[19:20]
	global_load_b128 v[17:20], v32, s[4:5] offset:192
	v_fma_f64 v[62:63], v[7:8], v[21:22], v[62:63]
	ds_load_2addr_stride64_b64 v[5:8], v25 offset0:24 offset1:28
	v_fma_f64 v[78:79], v[78:79], v[21:22], -v[23:24]
	v_fma_f64 v[92:93], v[9:10], v[26:27], v[92:93]
	global_load_b128 v[21:24], v32, s[4:5] offset:144
	v_fma_f64 v[94:95], v[11:12], v[34:35], v[94:95]
	global_load_b128 v[9:12], v32, s[4:5] offset:208
	v_fma_f64 v[84:85], v[84:85], v[26:27], -v[28:29]
	s_wait_loadcnt 0x8
	v_mul_f64_e32 v[28:29], v[13:14], v[56:57]
	s_wait_dscnt 0x0
	v_mul_f64_e32 v[26:27], v[5:6], v[56:57]
	v_fma_f64 v[56:57], v[86:87], v[34:35], -v[36:37]
	s_wait_loadcnt 0x7
	v_mul_f64_e32 v[34:35], v[7:8], v[60:61]
	s_wait_loadcnt 0x6
	v_mul_f64_e32 v[36:37], v[38:39], v[70:71]
	s_delay_alu instid0(VALU_DEP_4)
	v_fma_f64 v[86:87], v[13:14], v[54:55], v[26:27]
	v_fma_f64 v[54:55], v[5:6], v[54:55], -v[28:29]
	v_mul_f64_e32 v[5:6], v[15:16], v[60:61]
	v_fma_f64 v[60:61], v[15:16], v[58:59], v[34:35]
	s_clause 0x1
	global_load_b128 v[13:16], v32, s[4:5] offset:224
	global_load_b128 v[26:29], v32, s[4:5] offset:160
	v_lshl_or_b32 v32, v0, 4, v0
	s_delay_alu instid0(VALU_DEP_1) | instskip(NEXT) | instid1(VALU_DEP_1)
	v_and_b32_e32 v32, 0xf0f, v32
	v_lshl_add_u32 v64, v32, 3, 0
	v_fma_f64 v[58:59], v[7:8], v[58:59], -v[5:6]
	ds_load_2addr_stride64_b64 v[5:8], v25 offset0:32 offset1:36
	s_wait_dscnt 0x0
	v_mul_f64_e32 v[34:35], v[5:6], v[70:71]
	s_delay_alu instid0(VALU_DEP_1)
	v_fma_f64 v[70:71], v[38:39], v[68:69], v[34:35]
	v_fma_f64 v[68:69], v[5:6], v[68:69], -v[36:37]
	s_wait_loadcnt 0x7
	v_mul_f64_e32 v[5:6], v[7:8], v[74:75]
	v_mul_f64_e32 v[38:39], v[40:41], v[74:75]
	ds_load_2addr_stride64_b64 v[34:37], v25 offset0:48 offset1:52
	v_fma_f64 v[74:75], v[40:41], v[72:73], v[5:6]
	v_fma_f64 v[72:73], v[7:8], v[72:73], -v[38:39]
	s_wait_loadcnt_dscnt 0x600
	v_mul_f64_e32 v[5:6], v[34:35], v[90:91]
	v_mul_f64_e32 v[7:8], v[46:47], v[90:91]
	s_delay_alu instid0(VALU_DEP_2) | instskip(NEXT) | instid1(VALU_DEP_2)
	v_fma_f64 v[46:47], v[46:47], v[88:89], v[5:6]
	v_fma_f64 v[34:35], v[34:35], v[88:89], -v[7:8]
	ds_load_2addr_stride64_b64 v[5:8], v25 offset0:40 offset1:44
	s_wait_loadcnt 0x4
	v_mul_f64_e32 v[38:39], v[36:37], v[19:20]
	v_mul_f64_e32 v[19:20], v[48:49], v[19:20]
	s_delay_alu instid0(VALU_DEP_2)
	v_fma_f64 v[48:49], v[48:49], v[17:18], v[38:39]
	ds_load_2addr_stride64_b64 v[38:41], v25 offset0:56 offset1:60
	v_fma_f64 v[17:18], v[36:37], v[17:18], -v[19:20]
	s_wait_loadcnt_dscnt 0x301
	v_mul_f64_e32 v[19:20], v[5:6], v[23:24]
	v_mul_f64_e32 v[23:24], v[42:43], v[23:24]
	s_wait_loadcnt_dscnt 0x200
	v_mul_f64_e32 v[36:37], v[38:39], v[11:12]
	v_mul_f64_e32 v[11:12], v[50:51], v[11:12]
	v_add_f64_e64 v[17:18], v[56:57], -v[17:18]
	v_fma_f64 v[19:20], v[42:43], v[21:22], v[19:20]
	v_fma_f64 v[5:6], v[5:6], v[21:22], -v[23:24]
	s_wait_loadcnt 0x0
	v_mul_f64_e32 v[21:22], v[7:8], v[28:29]
	v_mul_f64_e32 v[28:29], v[44:45], v[28:29]
	v_fma_f64 v[23:24], v[50:51], v[9:10], v[36:37]
	v_fma_f64 v[36:37], v[38:39], v[9:10], -v[11:12]
	ds_load_2addr_stride64_b64 v[9:12], v25 offset1:4
	v_mul_f64_e32 v[38:39], v[52:53], v[15:16]
	v_mul_f64_e32 v[15:16], v[40:41], v[15:16]
	global_wb scope:SCOPE_SE
	s_wait_dscnt 0x0
	s_barrier_signal -1
	s_barrier_wait -1
	global_inv scope:SCOPE_SE
	v_add_f64_e64 v[19:20], v[30:31], -v[19:20]
	v_add_f64_e64 v[5:6], v[76:77], -v[5:6]
	v_mul_f64_e32 v[42:43], v[11:12], v[82:83]
	v_fma_f64 v[21:22], v[44:45], v[26:27], v[21:22]
	v_fma_f64 v[7:8], v[7:8], v[26:27], -v[28:29]
	v_add_f64_e64 v[26:27], v[84:85], -v[34:35]
	v_add_f64_e64 v[44:45], v[94:95], -v[48:49]
	v_add_f64_e64 v[23:24], v[86:87], -v[23:24]
	v_add_f64_e64 v[28:29], v[54:55], -v[36:37]
	v_fma_f64 v[38:39], v[40:41], v[13:14], -v[38:39]
	v_mul_f64_e32 v[40:41], v[3:4], v[82:83]
	v_fma_f64 v[13:14], v[52:53], v[13:14], v[15:16]
	v_add_f64_e64 v[15:16], v[1:2], -v[70:71]
	v_fma_f64 v[30:31], v[30:31], 2.0, -v[19:20]
	v_fma_f64 v[76:77], v[76:77], 2.0, -v[5:6]
	v_fma_f64 v[3:4], v[3:4], v[80:81], v[42:43]
	v_add_f64_e64 v[21:22], v[62:63], -v[21:22]
	v_add_f64_e64 v[7:8], v[78:79], -v[7:8]
	;; [unrolled: 1-line block ×3, first 2 shown]
	v_add_f64_e32 v[48:49], v[19:20], v[28:29]
	v_fma_f64 v[28:29], v[54:55], 2.0, -v[28:29]
	v_add_f64_e64 v[36:37], v[58:59], -v[38:39]
	v_fma_f64 v[11:12], v[11:12], v[80:81], -v[40:41]
	v_add_f64_e64 v[38:39], v[9:10], -v[68:69]
	v_add_f64_e64 v[40:41], v[92:93], -v[46:47]
	;; [unrolled: 1-line block ×3, first 2 shown]
	v_add_f64_e32 v[46:47], v[15:16], v[26:27]
	v_fma_f64 v[1:2], v[1:2], 2.0, -v[15:16]
	v_fma_f64 v[23:24], v[86:87], 2.0, -v[23:24]
	;; [unrolled: 1-line block ×3, first 2 shown]
	v_add_f64_e64 v[34:35], v[3:4], -v[74:75]
	v_fma_f64 v[54:55], v[62:63], 2.0, -v[21:22]
	v_fma_f64 v[62:63], v[78:79], 2.0, -v[7:8]
	;; [unrolled: 1-line block ×4, first 2 shown]
	v_add_f64_e64 v[28:29], v[76:77], -v[28:29]
	v_add_f64_e32 v[52:53], v[21:22], v[36:37]
	v_add_f64_e64 v[42:43], v[11:12], -v[72:73]
	v_fma_f64 v[36:37], v[58:59], 2.0, -v[36:37]
	v_add_f64_e64 v[68:69], v[38:39], -v[40:41]
	v_add_f64_e64 v[74:75], v[7:8], -v[13:14]
	v_fma_f64 v[40:41], v[92:93], 2.0, -v[40:41]
	v_fma_f64 v[13:14], v[60:61], 2.0, -v[13:14]
	;; [unrolled: 1-line block ×4, first 2 shown]
	v_add_f64_e64 v[23:24], v[30:31], -v[23:24]
	v_add_f64_e32 v[50:51], v[34:35], v[17:18]
	v_fma_f64 v[3:4], v[3:4], 2.0, -v[34:35]
	v_fma_f64 v[17:18], v[56:57], 2.0, -v[17:18]
	v_fma_f64 v[56:57], v[48:49], s[2:3], v[46:47]
	v_fma_f64 v[21:22], v[21:22], 2.0, -v[52:53]
	v_add_f64_e64 v[72:73], v[42:43], -v[44:45]
	v_fma_f64 v[44:45], v[94:95], 2.0, -v[44:45]
	v_fma_f64 v[11:12], v[11:12], 2.0, -v[42:43]
	;; [unrolled: 1-line block ×4, first 2 shown]
	v_add_f64_e64 v[40:41], v[1:2], -v[40:41]
	v_add_f64_e64 v[36:37], v[62:63], -v[36:37]
	;; [unrolled: 1-line block ×3, first 2 shown]
	v_fma_f64 v[60:61], v[19:20], s[0:1], v[15:16]
	v_add_f64_e64 v[26:27], v[9:10], -v[26:27]
	v_fma_f64 v[80:81], v[70:71], s[2:3], v[68:69]
	v_fma_f64 v[30:31], v[30:31], 2.0, -v[23:24]
	v_fma_f64 v[34:35], v[34:35], 2.0, -v[50:51]
	v_fma_f64 v[58:59], v[52:53], s[2:3], v[50:51]
	v_fma_f64 v[56:57], v[70:71], s[2:3], v[56:57]
	v_fma_f64 v[42:43], v[42:43], 2.0, -v[72:73]
	v_add_f64_e64 v[44:45], v[3:4], -v[44:45]
	v_add_f64_e64 v[17:18], v[11:12], -v[17:18]
	v_fma_f64 v[82:83], v[5:6], s[0:1], v[38:39]
	v_fma_f64 v[86:87], v[74:75], s[2:3], v[72:73]
	v_add_f64_e32 v[88:89], v[40:41], v[28:29]
	v_fma_f64 v[1:2], v[1:2], 2.0, -v[40:41]
	v_fma_f64 v[54:55], v[54:55], 2.0, -v[13:14]
	v_fma_f64 v[5:6], v[5:6], s[2:3], v[60:61]
	v_fma_f64 v[9:10], v[9:10], 2.0, -v[26:27]
	v_fma_f64 v[28:29], v[76:77], 2.0, -v[28:29]
	v_add_f64_e64 v[23:24], v[26:27], -v[23:24]
	v_fma_f64 v[48:49], v[48:49], s[0:1], v[80:81]
	v_fma_f64 v[78:79], v[21:22], s[0:1], v[34:35]
	;; [unrolled: 1-line block ×3, first 2 shown]
	v_fma_f64 v[46:47], v[46:47], 2.0, -v[56:57]
	v_fma_f64 v[84:85], v[7:8], s[0:1], v[42:43]
	v_add_f64_e32 v[70:71], v[44:45], v[36:37]
	v_fma_f64 v[3:4], v[3:4], 2.0, -v[44:45]
	v_fma_f64 v[11:12], v[11:12], 2.0, -v[17:18]
	;; [unrolled: 1-line block ×3, first 2 shown]
	v_fma_f64 v[19:20], v[19:20], s[0:1], v[82:83]
	v_add_f64_e64 v[13:14], v[17:18], -v[13:14]
	v_fma_f64 v[52:53], v[52:53], s[0:1], v[86:87]
	v_fma_f64 v[40:41], v[40:41], 2.0, -v[88:89]
	v_add_f64_e64 v[30:31], v[1:2], -v[30:31]
	v_fma_f64 v[15:16], v[15:16], 2.0, -v[5:6]
	v_add_f64_e64 v[28:29], v[9:10], -v[28:29]
	v_fma_f64 v[26:27], v[26:27], 2.0, -v[23:24]
	v_fma_f64 v[60:61], v[68:69], 2.0, -v[48:49]
	v_fma_f64 v[7:8], v[7:8], s[2:3], v[78:79]
	v_fma_f64 v[50:51], v[50:51], 2.0, -v[58:59]
	v_fma_f64 v[21:22], v[21:22], s[0:1], v[84:85]
	v_fma_f64 v[44:45], v[44:45], 2.0, -v[70:71]
	v_add_f64_e64 v[54:55], v[3:4], -v[54:55]
	v_fma_f64 v[68:69], v[70:71], s[2:3], v[88:89]
	v_add_f64_e64 v[36:37], v[11:12], -v[36:37]
	v_fma_f64 v[38:39], v[38:39], 2.0, -v[19:20]
	v_fma_f64 v[17:18], v[17:18], 2.0, -v[13:14]
	;; [unrolled: 1-line block ×3, first 2 shown]
	v_fma_f64 v[72:73], v[58:59], s[14:15], v[56:57]
	v_fma_f64 v[1:2], v[1:2], 2.0, -v[30:31]
	v_fma_f64 v[82:83], v[13:14], s[2:3], v[23:24]
	v_fma_f64 v[9:10], v[9:10], 2.0, -v[28:29]
	;; [unrolled: 2-line block ×3, first 2 shown]
	v_fma_f64 v[76:77], v[50:51], s[12:13], v[46:47]
	v_fma_f64 v[78:79], v[7:8], s[10:11], v[5:6]
	v_fma_f64 v[42:43], v[42:43], 2.0, -v[21:22]
	v_fma_f64 v[74:75], v[44:45], s[0:1], v[40:41]
	v_fma_f64 v[3:4], v[3:4], 2.0, -v[54:55]
	;; [unrolled: 2-line block ×3, first 2 shown]
	v_fma_f64 v[13:14], v[13:14], s[2:3], v[68:69]
	v_fma_f64 v[84:85], v[17:18], s[0:1], v[26:27]
	;; [unrolled: 1-line block ×4, first 2 shown]
	v_add_f64_e32 v[36:37], v[30:31], v[36:37]
	v_fma_f64 v[68:69], v[70:71], s[0:1], v[82:83]
	v_add_f64_e64 v[54:55], v[28:29], -v[54:55]
	v_fma_f64 v[58:59], v[58:59], s[12:13], v[94:95]
	v_fma_f64 v[80:81], v[34:35], s[6:7], v[15:16]
	;; [unrolled: 1-line block ×6, first 2 shown]
	v_add_f64_e64 v[3:4], v[1:2], -v[3:4]
	v_fma_f64 v[72:73], v[7:8], s[6:7], v[92:93]
	v_add_f64_e64 v[70:71], v[9:10], -v[11:12]
	v_fma_f64 v[7:8], v[88:89], 2.0, -v[13:14]
	v_fma_f64 v[44:45], v[44:45], s[0:1], v[84:85]
	v_fma_f64 v[50:51], v[50:51], s[6:7], v[90:91]
	v_fma_f64 v[11:12], v[56:57], 2.0, -v[52:53]
	v_fma_f64 v[30:31], v[30:31], 2.0, -v[36:37]
	;; [unrolled: 1-line block ×5, first 2 shown]
	v_fma_f64 v[42:43], v[42:43], s[10:11], v[80:81]
	v_fma_f64 v[46:47], v[46:47], 2.0, -v[62:63]
	v_fma_f64 v[5:6], v[5:6], 2.0, -v[21:22]
	v_fma_f64 v[34:35], v[34:35], s[12:13], v[86:87]
	v_fma_f64 v[40:41], v[40:41], 2.0, -v[17:18]
	v_fma_f64 v[1:2], v[1:2], 2.0, -v[3:4]
	v_fma_f64 v[80:81], v[19:20], 2.0, -v[72:73]
	v_fma_f64 v[76:77], v[9:10], 2.0, -v[70:71]
	v_fma_f64 v[78:79], v[26:27], 2.0, -v[44:45]
	v_fma_f64 v[60:61], v[60:61], 2.0, -v[50:51]
	v_fma_f64 v[15:16], v[15:16], 2.0, -v[42:43]
	ds_store_2addr_b64 v64, v[13:14], v[52:53] offset0:224 offset1:240
	ds_store_2addr_b64 v64, v[7:8], v[11:12] offset0:96 offset1:112
	;; [unrolled: 1-line block ×7, first 2 shown]
	ds_store_2addr_b64 v64, v[1:2], v[15:16] offset1:16
	v_fma_f64 v[38:39], v[38:39], 2.0, -v[34:35]
	global_wb scope:SCOPE_SE
	s_wait_dscnt 0x0
	s_barrier_signal -1
	s_barrier_wait -1
	global_inv scope:SCOPE_SE
	ds_load_2addr_stride64_b64 v[1:4], v25 offset1:4
	ds_load_2addr_stride64_b64 v[21:24], v25 offset0:8 offset1:12
	ds_load_2addr_stride64_b64 v[13:16], v25 offset0:16 offset1:20
	;; [unrolled: 1-line block ×7, first 2 shown]
	global_wb scope:SCOPE_SE
	s_wait_dscnt 0x0
	s_barrier_signal -1
	s_barrier_wait -1
	global_inv scope:SCOPE_SE
	ds_store_2addr_b64 v64, v[76:77], v[38:39] offset1:16
	ds_store_2addr_b64 v64, v[78:79], v[60:61] offset0:32 offset1:48
	ds_store_2addr_b64 v64, v[56:57], v[80:81] offset0:64 offset1:80
	;; [unrolled: 1-line block ×7, first 2 shown]
	global_wb scope:SCOPE_SE
	s_wait_dscnt 0x0
	s_barrier_signal -1
	s_barrier_wait -1
	global_inv scope:SCOPE_SE
	s_and_saveexec_b32 s16, vcc_lo
	s_cbranch_execz .LBB0_13
; %bb.12:
	v_mul_u32_u24_e32 v34, 15, v0
	v_mul_i32_i24_e32 v0, 0xffffff88, v0
	v_add_co_u32 v65, vcc_lo, s8, v65
	s_wait_alu 0xfffd
	v_add_co_ci_u32_e32 v66, vcc_lo, s9, v66, vcc_lo
	v_lshlrev_b32_e32 v64, 4, v34
	v_add_nc_u32_e32 v0, v33, v0
	s_clause 0x8
	global_load_b128 v[34:37], v64, s[4:5] offset:3920
	global_load_b128 v[38:41], v64, s[4:5] offset:3936
	;; [unrolled: 1-line block ×9, first 2 shown]
	ds_load_2addr_stride64_b64 v[76:79], v0 offset0:56 offset1:60
	global_load_b128 v[80:83], v64, s[4:5] offset:4032
	s_wait_loadcnt 0x9
	v_mul_f64_e32 v[84:85], v[29:30], v[36:37]
	v_mul_f64_e32 v[62:63], v[29:30], v[34:35]
	s_wait_loadcnt 0x8
	v_mul_f64_e32 v[86:87], v[31:32], v[38:39]
	v_mul_f64_e32 v[88:89], v[31:32], v[40:41]
	ds_load_2addr_stride64_b64 v[29:32], v0 offset0:24 offset1:28
	s_wait_loadcnt_dscnt 0x701
	v_mul_f64_e32 v[90:91], v[44:45], v[76:77]
	s_wait_dscnt 0x0
	v_fma_f64 v[84:85], v[29:30], v[34:35], -v[84:85]
	v_mul_f64_e32 v[33:34], v[25:26], v[44:45]
	v_fma_f64 v[62:63], v[29:30], v[36:37], v[62:63]
	v_fma_f64 v[86:87], v[31:32], v[40:41], v[86:87]
	v_fma_f64 v[88:89], v[31:32], v[38:39], -v[88:89]
	global_load_b128 v[29:32], v64, s[4:5] offset:3888
	s_wait_loadcnt 0x7
	v_mul_f64_e32 v[37:38], v[48:49], v[78:79]
	v_mul_f64_e32 v[39:40], v[27:28], v[48:49]
	v_fma_f64 v[48:49], v[25:26], v[42:43], v[90:91]
	v_fma_f64 v[76:77], v[42:43], v[76:77], -v[33:34]
	ds_load_2addr_stride64_b64 v[33:36], v0 offset0:8 offset1:12
	s_wait_loadcnt 0x6
	v_mul_f64_e32 v[41:42], v[21:22], v[52:53]
	v_fma_f64 v[90:91], v[27:28], v[46:47], v[37:38]
	global_load_b128 v[25:28], v64, s[4:5] offset:3840
	v_fma_f64 v[45:46], v[46:47], v[78:79], -v[39:40]
	global_load_b128 v[37:40], v64, s[4:5] offset:4016
	s_wait_dscnt 0x0
	v_mul_f64_e32 v[43:44], v[33:34], v[52:53]
	s_wait_loadcnt 0x7
	v_mul_f64_e32 v[52:53], v[23:24], v[56:57]
	v_fma_f64 v[78:79], v[33:34], v[50:51], -v[41:42]
	s_delay_alu instid0(VALU_DEP_3)
	v_fma_f64 v[50:51], v[21:22], v[50:51], v[43:44]
	global_load_b128 v[41:44], v64, s[4:5] offset:3952
	v_fma_f64 v[52:53], v[35:36], v[54:55], -v[52:53]
	v_mul_f64_e32 v[21:22], v[35:36], v[56:57]
	global_load_b128 v[33:36], v64, s[4:5] offset:3968
	s_wait_loadcnt 0x8
	v_mul_f64_e32 v[56:57], v[17:18], v[60:61]
	v_lshlrev_b32_e32 v64, 4, v67
	s_delay_alu instid0(VALU_DEP_1)
	v_add_co_u32 v64, vcc_lo, v65, v64
	s_wait_alu 0xfffd
	v_add_co_ci_u32_e32 v65, vcc_lo, 0, v66, vcc_lo
	v_fma_f64 v[54:55], v[23:24], v[54:55], v[21:22]
	ds_load_2addr_stride64_b64 v[21:24], v0 offset0:40 offset1:44
	s_wait_dscnt 0x0
	v_mul_f64_e32 v[60:61], v[21:22], v[60:61]
	v_fma_f64 v[56:57], v[21:22], v[58:59], -v[56:57]
	s_wait_loadcnt 0x7
	v_mul_f64_e32 v[21:22], v[23:24], v[70:71]
	s_delay_alu instid0(VALU_DEP_3) | instskip(SKIP_4) | instid1(VALU_DEP_3)
	v_fma_f64 v[58:59], v[17:18], v[58:59], v[60:61]
	v_mul_f64_e32 v[17:18], v[19:20], v[70:71]
	s_wait_loadcnt 0x6
	v_mul_f64_e32 v[60:61], v[15:16], v[72:73]
	v_mul_f64_e32 v[70:71], v[15:16], v[74:75]
	v_fma_f64 v[23:24], v[68:69], v[23:24], -v[17:18]
	v_fma_f64 v[68:69], v[19:20], v[68:69], v[21:22]
	ds_load_2addr_stride64_b64 v[15:18], v0 offset0:16 offset1:20
	ds_load_2addr_stride64_b64 v[19:22], v0 offset0:48 offset1:52
	s_wait_dscnt 0x1
	v_fma_f64 v[60:61], v[17:18], v[74:75], v[60:61]
	v_fma_f64 v[17:18], v[17:18], v[72:73], -v[70:71]
	s_wait_loadcnt_dscnt 0x500
	v_mul_f64_e32 v[70:71], v[82:83], v[21:22]
	v_mul_f64_e32 v[72:73], v[11:12], v[82:83]
	v_add_f64_e64 v[23:24], v[52:53], -v[23:24]
	s_delay_alu instid0(VALU_DEP_3) | instskip(NEXT) | instid1(VALU_DEP_3)
	v_fma_f64 v[70:71], v[11:12], v[80:81], v[70:71]
	v_fma_f64 v[21:22], v[80:81], v[21:22], -v[72:73]
	s_wait_loadcnt 0x4
	v_mul_f64_e32 v[92:93], v[13:14], v[29:30]
	v_mul_f64_e32 v[13:14], v[13:14], v[31:32]
	s_delay_alu instid0(VALU_DEP_3) | instskip(NEXT) | instid1(VALU_DEP_3)
	v_add_f64_e64 v[21:22], v[17:18], -v[21:22]
	v_fma_f64 v[31:32], v[15:16], v[31:32], v[92:93]
	s_delay_alu instid0(VALU_DEP_3)
	v_fma_f64 v[29:30], v[15:16], v[29:30], -v[13:14]
	ds_load_2addr_stride64_b64 v[13:16], v0 offset1:4
	s_wait_loadcnt 0x3
	v_mul_f64_e32 v[82:83], v[3:4], v[27:28]
	s_wait_loadcnt 0x2
	v_mul_f64_e32 v[74:75], v[39:40], v[19:20]
	v_mul_f64_e32 v[39:40], v[9:10], v[39:40]
	v_fma_f64 v[17:18], v[17:18], 2.0, -v[21:22]
	s_wait_dscnt 0x0
	v_mul_f64_e32 v[11:12], v[15:16], v[27:28]
	v_fma_f64 v[15:16], v[15:16], v[25:26], -v[82:83]
	v_fma_f64 v[72:73], v[9:10], v[37:38], v[74:75]
	s_wait_loadcnt 0x1
	v_mul_f64_e32 v[27:28], v[5:6], v[43:44]
	s_wait_loadcnt 0x0
	v_mul_f64_e32 v[74:75], v[7:8], v[35:36]
	v_fma_f64 v[3:4], v[3:4], v[25:26], v[11:12]
	ds_load_2addr_stride64_b64 v[9:12], v0 offset0:32 offset1:36
	s_wait_dscnt 0x0
	v_fma_f64 v[25:26], v[9:10], v[41:42], -v[27:28]
	v_mul_f64_e32 v[9:10], v[9:10], v[43:44]
	v_add_f64_e64 v[43:44], v[88:89], -v[45:46]
	v_fma_f64 v[27:28], v[11:12], v[33:34], -v[74:75]
	v_mul_f64_e32 v[11:12], v[11:12], v[35:36]
	v_add_f64_e64 v[35:36], v[84:85], -v[76:77]
	v_add_f64_e64 v[45:46], v[54:55], -v[68:69]
	;; [unrolled: 1-line block ×3, first 2 shown]
	v_fma_f64 v[5:6], v[5:6], v[41:42], v[9:10]
	v_add_f64_e64 v[9:10], v[78:79], -v[56:57]
	v_add_f64_e64 v[27:28], v[15:16], -v[27:28]
	v_fma_f64 v[7:8], v[7:8], v[33:34], v[11:12]
	v_fma_f64 v[11:12], v[37:38], v[19:20], -v[39:40]
	v_add_f64_e64 v[19:20], v[62:63], -v[48:49]
	v_add_f64_e64 v[33:34], v[31:32], -v[72:73]
	;; [unrolled: 1-line block ×5, first 2 shown]
	v_add_f64_e32 v[72:73], v[45:46], v[43:44]
	v_fma_f64 v[43:44], v[88:89], 2.0, -v[43:44]
	v_fma_f64 v[13:14], v[13:14], 2.0, -v[25:26]
	v_add_f64_e64 v[5:6], v[1:2], -v[5:6]
	v_fma_f64 v[15:16], v[15:16], 2.0, -v[27:28]
	v_add_f64_e64 v[7:8], v[3:4], -v[7:8]
	v_add_f64_e64 v[11:12], v[29:30], -v[11:12]
	v_add_f64_e64 v[56:57], v[9:10], -v[19:20]
	v_add_f64_e64 v[47:48], v[25:26], -v[33:34]
	v_add_f64_e32 v[58:59], v[37:38], v[35:36]
	v_add_f64_e64 v[70:71], v[23:24], -v[39:40]
	v_add_f64_e64 v[68:69], v[27:28], -v[41:42]
	v_fma_f64 v[19:20], v[62:63], 2.0, -v[19:20]
	v_fma_f64 v[35:36], v[84:85], 2.0, -v[35:36]
	;; [unrolled: 1-line block ×6, first 2 shown]
	v_add_f64_e64 v[17:18], v[15:16], -v[17:18]
	v_add_f64_e32 v[74:75], v[7:8], v[21:22]
	v_add_f64_e32 v[76:77], v[5:6], v[11:12]
	v_fma_f64 v[11:12], v[29:30], 2.0, -v[11:12]
	v_fma_f64 v[29:30], v[50:51], 2.0, -v[37:38]
	;; [unrolled: 1-line block ×12, first 2 shown]
	v_fma_f64 v[45:46], v[56:57], s[2:3], v[47:48]
	v_fma_f64 v[51:52], v[70:71], s[2:3], v[68:69]
	v_add_f64_e64 v[31:32], v[0:1], -v[31:32]
	v_fma_f64 v[15:16], v[15:16], 2.0, -v[17:18]
	v_fma_f64 v[7:8], v[7:8], 2.0, -v[74:75]
	;; [unrolled: 1-line block ×3, first 2 shown]
	v_add_f64_e64 v[11:12], v[13:14], -v[11:12]
	v_fma_f64 v[60:61], v[72:73], s[2:3], v[74:75]
	v_add_f64_e64 v[39:40], v[49:50], -v[39:40]
	v_add_f64_e64 v[41:42], v[3:4], -v[41:42]
	;; [unrolled: 1-line block ×3, first 2 shown]
	v_fma_f64 v[62:63], v[58:59], s[2:3], v[76:77]
	v_add_f64_e64 v[19:20], v[29:30], -v[19:20]
	v_add_f64_e64 v[43:44], v[21:22], -v[43:44]
	v_fma_f64 v[78:79], v[9:10], s[0:1], v[25:26]
	v_fma_f64 v[80:81], v[23:24], s[0:1], v[27:28]
	v_fma_f64 v[45:46], v[58:59], s[0:1], v[45:46]
	v_fma_f64 v[51:52], v[72:73], s[0:1], v[51:52]
	v_fma_f64 v[0:1], v[0:1], 2.0, -v[31:32]
	v_fma_f64 v[82:83], v[37:38], s[0:1], v[7:8]
	v_fma_f64 v[84:85], v[33:34], s[0:1], v[5:6]
	v_fma_f64 v[13:14], v[13:14], 2.0, -v[11:12]
	v_fma_f64 v[58:59], v[70:71], s[2:3], v[60:61]
	v_fma_f64 v[49:50], v[49:50], 2.0, -v[39:40]
	v_fma_f64 v[2:3], v[3:4], 2.0, -v[41:42]
	;; [unrolled: 1-line block ×3, first 2 shown]
	v_fma_f64 v[55:56], v[56:57], s[2:3], v[62:63]
	v_add_f64_e64 v[60:61], v[11:12], -v[19:20]
	v_add_f64_e64 v[39:40], v[17:18], -v[39:40]
	v_add_f64_e32 v[62:63], v[43:44], v[41:42]
	v_add_f64_e32 v[70:71], v[35:36], v[31:32]
	v_fma_f64 v[19:20], v[29:30], 2.0, -v[19:20]
	v_fma_f64 v[21:22], v[21:22], 2.0, -v[43:44]
	v_fma_f64 v[72:73], v[33:34], s[0:1], v[78:79]
	v_fma_f64 v[29:30], v[37:38], s[0:1], v[80:81]
	v_fma_f64 v[47:48], v[47:48], 2.0, -v[45:46]
	v_fma_f64 v[33:34], v[68:69], 2.0, -v[51:52]
	v_fma_f64 v[23:24], v[23:24], s[2:3], v[82:83]
	v_fma_f64 v[78:79], v[9:10], s[2:3], v[84:85]
	v_fma_f64 v[35:36], v[74:75], 2.0, -v[58:59]
	v_add_f64_e64 v[9:10], v[2:3], -v[49:50]
	v_add_f64_e64 v[43:44], v[13:14], -v[53:54]
	v_fma_f64 v[68:69], v[76:77], 2.0, -v[55:56]
	v_fma_f64 v[49:50], v[11:12], 2.0, -v[60:61]
	;; [unrolled: 1-line block ×5, first 2 shown]
	v_add_f64_e64 v[74:75], v[0:1], -v[19:20]
	v_add_f64_e64 v[19:20], v[15:16], -v[21:22]
	v_fma_f64 v[76:77], v[25:26], 2.0, -v[72:73]
	v_fma_f64 v[41:42], v[27:28], 2.0, -v[29:30]
	v_fma_f64 v[11:12], v[62:63], s[2:3], v[70:71]
	v_fma_f64 v[21:22], v[58:59], s[14:15], v[55:56]
	;; [unrolled: 1-line block ×4, first 2 shown]
	v_fma_f64 v[31:32], v[7:8], 2.0, -v[23:24]
	v_fma_f64 v[80:81], v[5:6], 2.0, -v[78:79]
	v_fma_f64 v[4:5], v[51:52], s[14:15], v[45:46]
	v_fma_f64 v[6:7], v[39:40], s[2:3], v[60:61]
	v_fma_f64 v[27:28], v[23:24], s[10:11], v[78:79]
	v_fma_f64 v[96:97], v[2:3], 2.0, -v[9:10]
	v_fma_f64 v[90:91], v[13:14], 2.0, -v[43:44]
	v_fma_f64 v[88:89], v[35:36], s[12:13], v[68:69]
	v_fma_f64 v[84:85], v[37:38], s[0:1], v[49:50]
	v_fma_f64 v[86:87], v[17:18], s[0:1], v[53:54]
	v_fma_f64 v[94:95], v[0:1], 2.0, -v[74:75]
	v_fma_f64 v[92:93], v[15:16], 2.0, -v[19:20]
	v_fma_f64 v[98:99], v[41:42], s[6:7], v[76:77]
	v_fma_f64 v[0:1], v[51:52], s[10:11], v[21:22]
	v_fma_f64 v[14:15], v[35:36], s[6:7], v[82:83]
	v_fma_f64 v[22:23], v[23:24], s[6:7], v[25:26]
	v_fma_f64 v[100:101], v[31:32], s[6:7], v[80:81]
	;; [unrolled: 1-line block ×5, first 2 shown]
	v_add_f64_e64 v[10:11], v[43:44], -v[9:10]
	v_add_f64_e32 v[8:9], v[74:75], v[19:20]
	v_fma_f64 v[12:13], v[33:34], s[14:15], v[88:89]
	v_fma_f64 v[20:21], v[29:30], s[14:15], v[27:28]
	;; [unrolled: 1-line block ×4, first 2 shown]
	v_add_f64_e64 v[24:25], v[94:95], -v[96:97]
	v_add_f64_e64 v[26:27], v[90:91], -v[92:93]
	v_fma_f64 v[30:31], v[31:32], s[12:13], v[98:99]
	v_fma_f64 v[32:33], v[55:56], 2.0, -v[0:1]
	v_fma_f64 v[28:29], v[41:42], s[10:11], v[100:101]
	v_fma_f64 v[34:35], v[45:46], 2.0, -v[2:3]
	v_fma_f64 v[38:39], v[60:61], 2.0, -v[6:7]
	;; [unrolled: 1-line block ×15, first 2 shown]
	s_clause 0xf
	global_store_b128 v[64:65], v[36:39], off offset:24576
	global_store_b128 v[64:65], v[32:35], off offset:28672
	;; [unrolled: 1-line block ×12, first 2 shown]
	global_store_b128 v[64:65], v[56:59], off
	global_store_b128 v[64:65], v[60:63], off offset:4096
	global_store_b128 v[64:65], v[4:7], off offset:57344
	global_store_b128 v[64:65], v[0:3], off offset:61440
.LBB0_13:
	s_nop 0
	s_sendmsg sendmsg(MSG_DEALLOC_VGPRS)
	s_endpgm
	.section	.rodata,"a",@progbits
	.p2align	6, 0x0
	.amdhsa_kernel fft_rtc_back_len4096_factors_16_16_16_wgs_256_tpt_256_halfLds_dp_ip_CI_unitstride_sbrr_dirReg
		.amdhsa_group_segment_fixed_size 0
		.amdhsa_private_segment_fixed_size 0
		.amdhsa_kernarg_size 88
		.amdhsa_user_sgpr_count 2
		.amdhsa_user_sgpr_dispatch_ptr 0
		.amdhsa_user_sgpr_queue_ptr 0
		.amdhsa_user_sgpr_kernarg_segment_ptr 1
		.amdhsa_user_sgpr_dispatch_id 0
		.amdhsa_user_sgpr_private_segment_size 0
		.amdhsa_wavefront_size32 1
		.amdhsa_uses_dynamic_stack 0
		.amdhsa_enable_private_segment 0
		.amdhsa_system_sgpr_workgroup_id_x 1
		.amdhsa_system_sgpr_workgroup_id_y 0
		.amdhsa_system_sgpr_workgroup_id_z 0
		.amdhsa_system_sgpr_workgroup_info 0
		.amdhsa_system_vgpr_workitem_id 0
		.amdhsa_next_free_vgpr 104
		.amdhsa_next_free_sgpr 32
		.amdhsa_reserve_vcc 1
		.amdhsa_float_round_mode_32 0
		.amdhsa_float_round_mode_16_64 0
		.amdhsa_float_denorm_mode_32 3
		.amdhsa_float_denorm_mode_16_64 3
		.amdhsa_fp16_overflow 0
		.amdhsa_workgroup_processor_mode 1
		.amdhsa_memory_ordered 1
		.amdhsa_forward_progress 0
		.amdhsa_round_robin_scheduling 0
		.amdhsa_exception_fp_ieee_invalid_op 0
		.amdhsa_exception_fp_denorm_src 0
		.amdhsa_exception_fp_ieee_div_zero 0
		.amdhsa_exception_fp_ieee_overflow 0
		.amdhsa_exception_fp_ieee_underflow 0
		.amdhsa_exception_fp_ieee_inexact 0
		.amdhsa_exception_int_div_zero 0
	.end_amdhsa_kernel
	.text
.Lfunc_end0:
	.size	fft_rtc_back_len4096_factors_16_16_16_wgs_256_tpt_256_halfLds_dp_ip_CI_unitstride_sbrr_dirReg, .Lfunc_end0-fft_rtc_back_len4096_factors_16_16_16_wgs_256_tpt_256_halfLds_dp_ip_CI_unitstride_sbrr_dirReg
                                        ; -- End function
	.section	.AMDGPU.csdata,"",@progbits
; Kernel info:
; codeLenInByte = 7568
; NumSgprs: 34
; NumVgprs: 104
; ScratchSize: 0
; MemoryBound: 1
; FloatMode: 240
; IeeeMode: 1
; LDSByteSize: 0 bytes/workgroup (compile time only)
; SGPRBlocks: 4
; VGPRBlocks: 12
; NumSGPRsForWavesPerEU: 34
; NumVGPRsForWavesPerEU: 104
; Occupancy: 12
; WaveLimiterHint : 1
; COMPUTE_PGM_RSRC2:SCRATCH_EN: 0
; COMPUTE_PGM_RSRC2:USER_SGPR: 2
; COMPUTE_PGM_RSRC2:TRAP_HANDLER: 0
; COMPUTE_PGM_RSRC2:TGID_X_EN: 1
; COMPUTE_PGM_RSRC2:TGID_Y_EN: 0
; COMPUTE_PGM_RSRC2:TGID_Z_EN: 0
; COMPUTE_PGM_RSRC2:TIDIG_COMP_CNT: 0
	.text
	.p2alignl 7, 3214868480
	.fill 96, 4, 3214868480
	.type	__hip_cuid_69323c662506d3db,@object ; @__hip_cuid_69323c662506d3db
	.section	.bss,"aw",@nobits
	.globl	__hip_cuid_69323c662506d3db
__hip_cuid_69323c662506d3db:
	.byte	0                               ; 0x0
	.size	__hip_cuid_69323c662506d3db, 1

	.ident	"AMD clang version 19.0.0git (https://github.com/RadeonOpenCompute/llvm-project roc-6.4.0 25133 c7fe45cf4b819c5991fe208aaa96edf142730f1d)"
	.section	".note.GNU-stack","",@progbits
	.addrsig
	.addrsig_sym __hip_cuid_69323c662506d3db
	.amdgpu_metadata
---
amdhsa.kernels:
  - .args:
      - .actual_access:  read_only
        .address_space:  global
        .offset:         0
        .size:           8
        .value_kind:     global_buffer
      - .offset:         8
        .size:           8
        .value_kind:     by_value
      - .actual_access:  read_only
        .address_space:  global
        .offset:         16
        .size:           8
        .value_kind:     global_buffer
      - .actual_access:  read_only
        .address_space:  global
        .offset:         24
        .size:           8
        .value_kind:     global_buffer
      - .offset:         32
        .size:           8
        .value_kind:     by_value
      - .actual_access:  read_only
        .address_space:  global
        .offset:         40
        .size:           8
        .value_kind:     global_buffer
      - .actual_access:  read_only
        .address_space:  global
        .offset:         48
        .size:           8
        .value_kind:     global_buffer
      - .offset:         56
        .size:           4
        .value_kind:     by_value
      - .actual_access:  read_only
        .address_space:  global
        .offset:         64
        .size:           8
        .value_kind:     global_buffer
      - .actual_access:  read_only
        .address_space:  global
        .offset:         72
        .size:           8
        .value_kind:     global_buffer
      - .address_space:  global
        .offset:         80
        .size:           8
        .value_kind:     global_buffer
    .group_segment_fixed_size: 0
    .kernarg_segment_align: 8
    .kernarg_segment_size: 88
    .language:       OpenCL C
    .language_version:
      - 2
      - 0
    .max_flat_workgroup_size: 256
    .name:           fft_rtc_back_len4096_factors_16_16_16_wgs_256_tpt_256_halfLds_dp_ip_CI_unitstride_sbrr_dirReg
    .private_segment_fixed_size: 0
    .sgpr_count:     34
    .sgpr_spill_count: 0
    .symbol:         fft_rtc_back_len4096_factors_16_16_16_wgs_256_tpt_256_halfLds_dp_ip_CI_unitstride_sbrr_dirReg.kd
    .uniform_work_group_size: 1
    .uses_dynamic_stack: false
    .vgpr_count:     104
    .vgpr_spill_count: 0
    .wavefront_size: 32
    .workgroup_processor_mode: 1
amdhsa.target:   amdgcn-amd-amdhsa--gfx1201
amdhsa.version:
  - 1
  - 2
...

	.end_amdgpu_metadata
